;; amdgpu-corpus repo=ROCm/rocFFT kind=compiled arch=gfx1201 opt=O3
	.text
	.amdgcn_target "amdgcn-amd-amdhsa--gfx1201"
	.amdhsa_code_object_version 6
	.protected	fft_rtc_back_len192_factors_8_3_8_wgs_192_tpt_24_dim2_dp_op_CI_CI_sbrc_aligned_dirReg ; -- Begin function fft_rtc_back_len192_factors_8_3_8_wgs_192_tpt_24_dim2_dp_op_CI_CI_sbrc_aligned_dirReg
	.globl	fft_rtc_back_len192_factors_8_3_8_wgs_192_tpt_24_dim2_dp_op_CI_CI_sbrc_aligned_dirReg
	.p2align	8
	.type	fft_rtc_back_len192_factors_8_3_8_wgs_192_tpt_24_dim2_dp_op_CI_CI_sbrc_aligned_dirReg,@function
fft_rtc_back_len192_factors_8_3_8_wgs_192_tpt_24_dim2_dp_op_CI_CI_sbrc_aligned_dirReg: ; @fft_rtc_back_len192_factors_8_3_8_wgs_192_tpt_24_dim2_dp_op_CI_CI_sbrc_aligned_dirReg
; %bb.0:
	s_load_b256 s[4:11], s[0:1], 0x0
	v_mul_u32_u24_e32 v1, 0x156, v0
	s_load_b64 s[18:19], s[0:1], 0x50
	v_lshrrev_b32_e32 v49, 3, v0
	v_and_b32_e32 v46, 7, v0
	s_wait_kmcnt 0x0
	s_load_b32 s2, s[6:7], 0x8
	s_load_b128 s[12:15], s[8:9], 0x0
	v_lshrrev_b32_e32 v33, 16, v1
	s_load_b64 s[8:9], s[8:9], 0x10
	s_mov_b32 s7, 0
	v_lshlrev_b32_e32 v36, 7, v49
	v_lshlrev_b32_e32 v48, 4, v46
	v_mul_lo_u16 v3, 0xc0, v33
	v_add_nc_u32_e32 v53, 24, v49
	v_add_nc_u32_e32 v52, 48, v49
	s_delay_alu instid0(VALU_DEP_4) | instskip(NEXT) | instid1(VALU_DEP_4)
	v_add3_u32 v47, 0, v36, v48
	v_sub_nc_u16 v5, v0, v3
	s_delay_alu instid0(VALU_DEP_3) | instskip(NEXT) | instid1(VALU_DEP_2)
	v_lshlrev_b32_e32 v51, 7, v52
	v_and_b32_e32 v45, 0xffff, v5
	s_wait_kmcnt 0x0
	s_add_co_i32 s2, s2, -1
	v_mul_lo_u32 v1, s14, v33
	s_lshr_b32 s2, s2, 3
	v_mov_b32_e32 v2, 0
	s_add_co_i32 s6, s2, 1
	s_not_b32 s2, s2
	s_cvt_f32_u32 s3, s6
	v_mad_co_u64_u32 v[7:8], null, s12, v45, 0
	s_delay_alu instid0(VALU_DEP_3) | instskip(SKIP_3) | instid1(VALU_DEP_2)
	v_lshlrev_b64_e32 v[3:4], 4, v[1:2]
	v_add_nc_u32_e32 v1, s14, v1
	v_rcp_iflag_f32_e32 v9, s3
	v_lshlrev_b32_e32 v33, 4, v33
	v_lshlrev_b64_e32 v[5:6], 4, v[1:2]
	v_add_nc_u32_e32 v1, s14, v1
	s_delay_alu instid0(TRANS32_DEP_1) | instskip(NEXT) | instid1(VALU_DEP_2)
	v_readfirstlane_b32 s3, v9
	v_lshlrev_b64_e32 v[9:10], 4, v[1:2]
	v_add_nc_u32_e32 v1, s14, v1
	s_delay_alu instid0(VALU_DEP_3) | instskip(NEXT) | instid1(VALU_DEP_2)
	s_mul_f32 s3, s3, 0x4f7ffffe
	v_mad_co_u64_u32 v[13:14], null, s13, v45, v[8:9]
	s_wait_alu 0xfffe
	s_delay_alu instid0(SALU_CYCLE_1)
	s_cvt_u32_f32 s3, s3
	v_lshlrev_b64_e32 v[11:12], 4, v[1:2]
	v_add_nc_u32_e32 v1, s14, v1
	s_wait_alu 0xfffe
	s_mul_i32 s2, s2, s3
	s_wait_alu 0xfffe
	s_mul_hi_u32 s2, s3, s2
	v_mov_b32_e32 v8, v13
	s_wait_alu 0xfffe
	s_add_co_i32 s3, s3, s2
	v_lshlrev_b64_e32 v[14:15], 4, v[1:2]
	s_wait_alu 0xfffe
	s_mul_hi_u32 s2, ttmp9, s3
	v_add_nc_u32_e32 v1, s14, v1
	s_wait_alu 0xfffe
	s_mul_i32 s3, s2, s6
	s_add_co_i32 s12, s2, 1
	s_wait_alu 0xfffe
	s_sub_co_i32 s3, ttmp9, s3
	v_lshlrev_b64_e32 v[7:8], 4, v[7:8]
	s_wait_alu 0xfffe
	s_sub_co_i32 s13, s3, s6
	s_cmp_ge_u32 s3, s6
	v_lshlrev_b64_e32 v[16:17], 4, v[1:2]
	s_cselect_b32 s2, s12, s2
	s_wait_alu 0xfffe
	s_cselect_b32 s3, s13, s3
	s_add_co_i32 s12, s2, 1
	s_wait_alu 0xfffe
	s_cmp_ge_u32 s3, s6
	s_mov_b32 s3, s7
	s_cselect_b32 s2, s12, s2
	v_add_nc_u32_e32 v1, s14, v1
	s_wait_alu 0xfffe
	s_mul_i32 s6, s2, s6
	s_mul_u64 s[8:9], s[8:9], s[2:3]
	s_sub_co_i32 s6, ttmp9, s6
	s_lshl_b64 s[8:9], s[8:9], 4
	s_lshl_b32 s16, s6, 3
	s_add_nc_u64 s[8:9], s[18:19], s[8:9]
	s_mul_i32 s6, s16, s14
	v_lshlrev_b64_e32 v[18:19], 4, v[1:2]
	s_lshl_b64 s[6:7], s[6:7], 4
	v_add_nc_u32_e32 v1, s14, v1
	s_add_nc_u64 s[6:7], s[8:9], s[6:7]
	v_lshlrev_b32_e32 v34, 7, v45
	v_add_co_u32 v7, vcc_lo, s6, v7
	v_add_co_ci_u32_e32 v8, vcc_lo, s7, v8, vcc_lo
	v_lshlrev_b64_e32 v[1:2], 4, v[1:2]
	s_delay_alu instid0(VALU_DEP_3) | instskip(SKIP_1) | instid1(VALU_DEP_3)
	v_add_co_u32 v3, vcc_lo, v7, v3
	s_wait_alu 0xfffd
	v_add_co_ci_u32_e32 v4, vcc_lo, v8, v4, vcc_lo
	v_add_co_u32 v5, vcc_lo, v7, v5
	s_wait_alu 0xfffd
	v_add_co_ci_u32_e32 v6, vcc_lo, v8, v6, vcc_lo
	;; [unrolled: 3-line block ×8, first 2 shown]
	s_clause 0x7
	global_load_b128 v[1:4], v[3:4], off
	global_load_b128 v[5:8], v[5:6], off
	global_load_b128 v[9:12], v[9:10], off
	global_load_b128 v[13:16], v[20:21], off
	global_load_b128 v[17:20], v[22:23], off
	global_load_b128 v[21:24], v[24:25], off
	global_load_b128 v[25:28], v[26:27], off
	global_load_b128 v[29:32], v[29:30], off
	v_or_b32_e32 v35, v34, v33
	v_add3_u32 v33, 0, v34, v33
	s_clause 0x1
	s_load_b128 s[12:15], s[10:11], 0x0
	s_load_b64 s[6:7], s[10:11], 0x10
	s_mov_b32 s8, 0x667f3bcd
	s_mov_b32 s9, 0xbfe6a09e
	v_add_nc_u32_e32 v35, 0, v35
	s_mov_b32 s11, 0x3fe6a09e
	s_mov_b32 s10, s8
	v_cmp_gt_u32_e32 vcc_lo, 0x80, v0
	s_wait_loadcnt 0x7
	ds_store_b128 v35, v[1:4]
	s_wait_loadcnt 0x6
	ds_store_b128 v33, v[5:8] offset:16
	s_wait_loadcnt 0x5
	ds_store_b128 v33, v[9:12] offset:32
	;; [unrolled: 2-line block ×7, first 2 shown]
	global_wb scope:SCOPE_SE
	s_wait_dscnt 0x0
	s_wait_kmcnt 0x0
	s_barrier_signal -1
	s_barrier_wait -1
	global_inv scope:SCOPE_SE
	ds_load_b128 v[1:4], v47 offset:12288
	ds_load_b128 v[5:8], v47
	ds_load_b128 v[9:12], v47 offset:6144
	ds_load_b128 v[13:16], v47 offset:18432
	;; [unrolled: 1-line block ×6, first 2 shown]
	global_wb scope:SCOPE_SE
	s_wait_dscnt 0x0
	s_barrier_signal -1
	s_barrier_wait -1
	global_inv scope:SCOPE_SE
	v_add_f64_e64 v[1:2], v[5:6], -v[1:2]
	v_add_f64_e64 v[3:4], v[7:8], -v[3:4]
	;; [unrolled: 1-line block ×8, first 2 shown]
	v_fma_f64 v[5:6], v[5:6], 2.0, -v[1:2]
	v_fma_f64 v[7:8], v[7:8], 2.0, -v[3:4]
	;; [unrolled: 1-line block ×6, first 2 shown]
	v_add_f64_e32 v[33:34], v[1:2], v[15:16]
	v_add_f64_e64 v[35:36], v[3:4], -v[13:14]
	v_fma_f64 v[13:14], v[25:26], 2.0, -v[29:30]
	v_fma_f64 v[15:16], v[27:28], 2.0, -v[31:32]
	v_add_f64_e32 v[25:26], v[21:22], v[31:32]
	v_add_f64_e64 v[27:28], v[23:24], -v[29:30]
	v_add_f64_e64 v[29:30], v[5:6], -v[9:10]
	v_add_f64_e64 v[31:32], v[7:8], -v[11:12]
	v_fma_f64 v[37:38], v[1:2], 2.0, -v[33:34]
	v_fma_f64 v[39:40], v[3:4], 2.0, -v[35:36]
	v_add_f64_e64 v[3:4], v[17:18], -v[13:14]
	v_add_f64_e64 v[1:2], v[19:20], -v[15:16]
	v_fma_f64 v[15:16], v[21:22], 2.0, -v[25:26]
	v_fma_f64 v[13:14], v[23:24], 2.0, -v[27:28]
	v_fma_f64 v[9:10], v[25:26], s[10:11], v[33:34]
	v_fma_f64 v[11:12], v[27:28], s[10:11], v[35:36]
	v_fma_f64 v[41:42], v[5:6], 2.0, -v[29:30]
	v_fma_f64 v[43:44], v[7:8], 2.0, -v[31:32]
	;; [unrolled: 1-line block ×4, first 2 shown]
	v_fma_f64 v[21:22], v[15:16], s[8:9], v[37:38]
	v_fma_f64 v[23:24], v[13:14], s[8:9], v[39:40]
	v_add_f64_e32 v[1:2], v[29:30], v[1:2]
	v_add_f64_e64 v[3:4], v[31:32], -v[3:4]
	v_fma_f64 v[5:6], v[27:28], s[10:11], v[9:10]
	v_fma_f64 v[7:8], v[25:26], s[8:9], v[11:12]
	v_add_f64_e64 v[9:10], v[41:42], -v[17:18]
	v_add_f64_e64 v[11:12], v[43:44], -v[19:20]
	v_fma_f64 v[13:14], v[13:14], s[10:11], v[21:22]
	v_fma_f64 v[15:16], v[15:16], s[8:9], v[23:24]
	v_fma_f64 v[17:18], v[29:30], 2.0, -v[1:2]
	v_fma_f64 v[19:20], v[31:32], 2.0, -v[3:4]
	;; [unrolled: 1-line block ×4, first 2 shown]
	v_lshlrev_b32_e32 v33, 7, v53
	v_mad_u32_u24 v34, 0x380, v49, v47
	s_delay_alu instid0(VALU_DEP_2)
	v_add3_u32 v50, 0, v33, v48
	v_fma_f64 v[25:26], v[41:42], 2.0, -v[9:10]
	v_fma_f64 v[27:28], v[43:44], 2.0, -v[11:12]
	;; [unrolled: 1-line block ×4, first 2 shown]
	ds_store_b128 v34, v[1:4] offset:768
	ds_store_b128 v34, v[5:8] offset:896
	;; [unrolled: 1-line block ×6, first 2 shown]
	ds_store_b128 v34, v[25:28]
	ds_store_b128 v34, v[29:32] offset:128
	global_wb scope:SCOPE_SE
	s_wait_dscnt 0x0
	s_barrier_signal -1
	s_barrier_wait -1
	global_inv scope:SCOPE_SE
	ds_load_b128 v[13:16], v47
	ds_load_b128 v[33:36], v47 offset:8192
	ds_load_b128 v[37:40], v47 offset:16384
	;; [unrolled: 1-line block ×3, first 2 shown]
	ds_load_b128 v[17:20], v50
	ds_load_b128 v[41:44], v47 offset:19456
                                        ; implicit-def: $vgpr11_vgpr12
	s_and_saveexec_b32 s8, vcc_lo
	s_cbranch_execz .LBB0_2
; %bb.1:
	v_add3_u32 v1, 0, v51, v48
	ds_load_b128 v[1:4], v1
	ds_load_b128 v[5:8], v47 offset:14336
	ds_load_b128 v[9:12], v47 offset:22528
.LBB0_2:
	s_wait_alu 0xfffe
	s_or_b32 exec_lo, exec_lo, s8
	v_bfe_u32 v54, v0, 3, 3
	s_mov_b32 s8, 0xe8584caa
	s_mov_b32 s9, 0xbfebb67a
	;; [unrolled: 1-line block ×3, first 2 shown]
	s_wait_alu 0xfffe
	s_mov_b32 s10, s8
	v_lshlrev_b32_e32 v21, 5, v54
	v_lshrrev_b32_e32 v53, 3, v53
	s_load_b64 s[0:1], s[0:1], 0x58
	s_clause 0x1
	global_load_b128 v[25:28], v21, s[4:5]
	global_load_b128 v[21:24], v21, s[4:5] offset:16
	v_mul_u32_u24_e32 v53, 24, v53
	global_wb scope:SCOPE_SE
	s_wait_loadcnt_dscnt 0x0
	s_wait_kmcnt 0x0
	s_barrier_signal -1
	s_barrier_wait -1
	global_inv scope:SCOPE_SE
	v_or_b32_e32 v53, v53, v54
	s_delay_alu instid0(VALU_DEP_1) | instskip(NEXT) | instid1(VALU_DEP_1)
	v_lshlrev_b32_e32 v53, 7, v53
	v_add3_u32 v53, 0, v53, v48
	v_mul_f64_e32 v[55:56], v[35:36], v[27:28]
	v_mul_f64_e32 v[57:58], v[39:40], v[23:24]
	;; [unrolled: 1-line block ×8, first 2 shown]
	v_fma_f64 v[33:34], v[33:34], v[25:26], v[55:56]
	v_fma_f64 v[37:38], v[37:38], v[21:22], v[57:58]
	v_fma_f64 v[35:36], v[35:36], v[25:26], -v[59:60]
	v_fma_f64 v[39:40], v[39:40], v[21:22], -v[61:62]
	v_fma_f64 v[29:30], v[29:30], v[25:26], v[63:64]
	v_fma_f64 v[41:42], v[41:42], v[21:22], v[65:66]
	v_fma_f64 v[31:32], v[31:32], v[25:26], -v[67:68]
	v_fma_f64 v[43:44], v[43:44], v[21:22], -v[69:70]
	v_add_f64_e32 v[63:64], v[13:14], v[33:34]
	v_add_f64_e32 v[55:56], v[33:34], v[37:38]
	v_add_f64_e64 v[71:72], v[33:34], -v[37:38]
	v_add_f64_e32 v[57:58], v[35:36], v[39:40]
	v_add_f64_e64 v[65:66], v[35:36], -v[39:40]
	v_add_f64_e32 v[59:60], v[29:30], v[41:42]
	v_add_f64_e32 v[35:36], v[15:16], v[35:36]
	;; [unrolled: 1-line block ×5, first 2 shown]
	v_add_f64_e64 v[73:74], v[31:32], -v[43:44]
	v_add_f64_e64 v[75:76], v[29:30], -v[41:42]
	v_fma_f64 v[55:56], v[55:56], -0.5, v[13:14]
	v_add_f64_e32 v[13:14], v[63:64], v[37:38]
	v_fma_f64 v[57:58], v[57:58], -0.5, v[15:16]
	v_fma_f64 v[59:60], v[59:60], -0.5, v[17:18]
	v_add_f64_e32 v[15:16], v[35:36], v[39:40]
	v_fma_f64 v[61:62], v[61:62], -0.5, v[19:20]
	v_add_f64_e32 v[17:18], v[67:68], v[41:42]
	v_add_f64_e32 v[19:20], v[69:70], v[43:44]
	v_fma_f64 v[29:30], v[65:66], s[8:9], v[55:56]
	v_fma_f64 v[33:34], v[65:66], s[10:11], v[55:56]
	;; [unrolled: 1-line block ×8, first 2 shown]
	v_lshrrev_b32_e32 v55, 6, v0
	s_delay_alu instid0(VALU_DEP_1) | instskip(NEXT) | instid1(VALU_DEP_1)
	v_mul_u32_u24_e32 v55, 24, v55
	v_or_b32_e32 v55, v55, v54
	s_delay_alu instid0(VALU_DEP_1) | instskip(NEXT) | instid1(VALU_DEP_1)
	v_lshlrev_b32_e32 v55, 7, v55
	v_add3_u32 v55, 0, v55, v48
	ds_store_b128 v55, v[13:16]
	ds_store_b128 v55, v[29:32] offset:1024
	ds_store_b128 v55, v[33:36] offset:2048
	ds_store_b128 v53, v[17:20]
	ds_store_b128 v53, v[37:40] offset:1024
	ds_store_b128 v53, v[41:44] offset:2048
	s_and_saveexec_b32 s15, vcc_lo
	s_cbranch_execz .LBB0_4
; %bb.3:
	v_mul_f64_e32 v[13:14], v[5:6], v[27:28]
	v_mul_f64_e32 v[15:16], v[9:10], v[23:24]
	;; [unrolled: 1-line block ×4, first 2 shown]
	s_delay_alu instid0(VALU_DEP_4) | instskip(NEXT) | instid1(VALU_DEP_4)
	v_fma_f64 v[7:8], v[7:8], v[25:26], -v[13:14]
	v_fma_f64 v[11:12], v[11:12], v[21:22], -v[15:16]
	s_delay_alu instid0(VALU_DEP_4) | instskip(NEXT) | instid1(VALU_DEP_4)
	v_fma_f64 v[5:6], v[5:6], v[25:26], v[17:18]
	v_fma_f64 v[9:10], v[9:10], v[21:22], v[19:20]
	s_delay_alu instid0(VALU_DEP_4) | instskip(NEXT) | instid1(VALU_DEP_4)
	v_add_f64_e32 v[19:20], v[3:4], v[7:8]
	v_add_f64_e32 v[13:14], v[7:8], v[11:12]
	v_add_f64_e64 v[21:22], v[7:8], -v[11:12]
	s_delay_alu instid0(VALU_DEP_4)
	v_add_f64_e32 v[15:16], v[5:6], v[9:10]
	v_add_f64_e64 v[17:18], v[5:6], -v[9:10]
	v_add_f64_e32 v[5:6], v[1:2], v[5:6]
	v_fma_f64 v[13:14], v[13:14], -0.5, v[3:4]
	v_add_f64_e32 v[3:4], v[19:20], v[11:12]
	v_fma_f64 v[15:16], v[15:16], -0.5, v[1:2]
	s_delay_alu instid0(VALU_DEP_4) | instskip(NEXT) | instid1(VALU_DEP_4)
	v_add_f64_e32 v[1:2], v[5:6], v[9:10]
	v_fma_f64 v[11:12], v[17:18], s[10:11], v[13:14]
	v_fma_f64 v[7:8], v[17:18], s[8:9], v[13:14]
	s_delay_alu instid0(VALU_DEP_4) | instskip(SKIP_2) | instid1(VALU_DEP_1)
	v_fma_f64 v[9:10], v[21:22], s[8:9], v[15:16]
	v_fma_f64 v[5:6], v[21:22], s[10:11], v[15:16]
	v_lshrrev_b32_e32 v13, 3, v52
	v_mul_u32_u24_e32 v13, 24, v13
	s_delay_alu instid0(VALU_DEP_1) | instskip(NEXT) | instid1(VALU_DEP_1)
	v_or_b32_e32 v13, v13, v54
	v_lshlrev_b32_e32 v13, 7, v13
	s_delay_alu instid0(VALU_DEP_1)
	v_add3_u32 v13, 0, v13, v48
	ds_store_b128 v13, v[1:4]
	ds_store_b128 v13, v[9:12] offset:1024
	ds_store_b128 v13, v[5:8] offset:2048
.LBB0_4:
	s_wait_alu 0xfffe
	s_or_b32 exec_lo, exec_lo, s15
	v_mul_lo_u16 v1, v49, 11
	global_wb scope:SCOPE_SE
	s_wait_dscnt 0x0
	s_barrier_signal -1
	s_barrier_wait -1
	global_inv scope:SCOPE_SE
	v_lshrrev_b16 v1, 8, v1
	v_and_b32_e32 v29, 0xf8, v0
	v_add3_u32 v33, 0, v51, v48
	s_mov_b32 s9, 0x3fe6a09e
	s_mul_u64 s[2:3], s[6:7], s[2:3]
	v_mul_lo_u16 v1, v1, 24
	v_lshlrev_b32_e32 v29, 4, v29
	s_wait_alu 0xfffe
	s_lshl_b64 s[2:3], s[2:3], 4
	s_wait_alu 0xfffe
	s_add_nc_u64 s[0:1], s[2:3], s[0:1]
	v_sub_nc_u16 v1, v49, v1
	v_add3_u32 v56, 0, v29, v48
	s_delay_alu instid0(VALU_DEP_2) | instskip(NEXT) | instid1(VALU_DEP_1)
	v_and_b32_e32 v74, 0xff, v1
	v_mul_u32_u24_e32 v1, 7, v74
	s_delay_alu instid0(VALU_DEP_1)
	v_lshlrev_b32_e32 v25, 4, v1
	s_clause 0x6
	global_load_b128 v[1:4], v25, s[4:5] offset:256
	global_load_b128 v[5:8], v25, s[4:5] offset:272
	;; [unrolled: 1-line block ×7, first 2 shown]
	ds_load_b128 v[29:32], v50
	ds_load_b128 v[33:36], v33
	ds_load_b128 v[37:40], v56 offset:12288
	ds_load_b128 v[41:44], v56 offset:18432
	ds_load_b128 v[48:51], v56 offset:15360
	ds_load_b128 v[52:55], v56 offset:9216
	ds_load_b128 v[56:59], v56 offset:21504
	s_mov_b32 s4, 0x667f3bcd
	s_mov_b32 s5, 0xbfe6a09e
	;; [unrolled: 1-line block ×3, first 2 shown]
	s_wait_loadcnt_dscnt 0x606
	v_mul_f64_e32 v[60:61], v[31:32], v[3:4]
	v_mul_f64_e32 v[3:4], v[29:30], v[3:4]
	s_wait_loadcnt_dscnt 0x505
	v_mul_f64_e32 v[62:63], v[35:36], v[7:8]
	v_mul_f64_e32 v[7:8], v[33:34], v[7:8]
	s_wait_loadcnt_dscnt 0x404
	v_mul_f64_e32 v[64:65], v[39:40], v[11:12]
	v_mul_f64_e32 v[11:12], v[37:38], v[11:12]
	s_wait_loadcnt_dscnt 0x303
	v_mul_f64_e32 v[66:67], v[43:44], v[15:16]
	v_mul_f64_e32 v[15:16], v[41:42], v[15:16]
	s_wait_loadcnt_dscnt 0x202
	v_mul_f64_e32 v[68:69], v[50:51], v[19:20]
	v_mul_f64_e32 v[19:20], v[48:49], v[19:20]
	s_wait_loadcnt_dscnt 0x101
	v_mul_f64_e32 v[70:71], v[54:55], v[23:24]
	v_mul_f64_e32 v[23:24], v[52:53], v[23:24]
	s_wait_loadcnt_dscnt 0x0
	v_mul_f64_e32 v[72:73], v[58:59], v[27:28]
	v_mul_f64_e32 v[27:28], v[56:57], v[27:28]
	v_fma_f64 v[29:30], v[29:30], v[1:2], v[60:61]
	v_fma_f64 v[31:32], v[31:32], v[1:2], -v[3:4]
	v_fma_f64 v[33:34], v[33:34], v[5:6], v[62:63]
	v_fma_f64 v[5:6], v[35:36], v[5:6], -v[7:8]
	v_fma_f64 v[7:8], v[37:38], v[9:10], v[64:65]
	v_fma_f64 v[9:10], v[39:40], v[9:10], -v[11:12]
	v_fma_f64 v[11:12], v[41:42], v[13:14], v[66:67]
	v_fma_f64 v[13:14], v[43:44], v[13:14], -v[15:16]
	v_fma_f64 v[15:16], v[48:49], v[17:18], v[68:69]
	v_fma_f64 v[17:18], v[50:51], v[17:18], -v[19:20]
	v_fma_f64 v[19:20], v[52:53], v[21:22], v[70:71]
	v_fma_f64 v[21:22], v[54:55], v[21:22], -v[23:24]
	v_fma_f64 v[23:24], v[56:57], v[25:26], v[72:73]
	v_fma_f64 v[25:26], v[58:59], v[25:26], -v[27:28]
	ds_load_b128 v[1:4], v47
	s_wait_dscnt 0x0
	v_add_f64_e64 v[7:8], v[1:2], -v[7:8]
	v_add_f64_e64 v[9:10], v[3:4], -v[9:10]
	;; [unrolled: 1-line block ×8, first 2 shown]
	v_fma_f64 v[1:2], v[1:2], 2.0, -v[7:8]
	v_fma_f64 v[3:4], v[3:4], 2.0, -v[9:10]
	;; [unrolled: 1-line block ×6, first 2 shown]
	v_add_f64_e32 v[33:34], v[7:8], v[13:14]
	v_add_f64_e64 v[35:36], v[9:10], -v[11:12]
	v_fma_f64 v[11:12], v[19:20], 2.0, -v[23:24]
	v_fma_f64 v[13:14], v[21:22], 2.0, -v[25:26]
	v_add_f64_e32 v[19:20], v[15:16], v[25:26]
	v_add_f64_e64 v[21:22], v[17:18], -v[23:24]
	v_add_f64_e64 v[23:24], v[1:2], -v[27:28]
	v_add_f64_e64 v[25:26], v[3:4], -v[5:6]
	v_fma_f64 v[37:38], v[7:8], 2.0, -v[33:34]
	v_fma_f64 v[39:40], v[9:10], 2.0, -v[35:36]
	v_add_f64_e64 v[5:6], v[29:30], -v[11:12]
	v_add_f64_e64 v[7:8], v[31:32], -v[13:14]
	v_fma_f64 v[14:15], v[15:16], 2.0, -v[19:20]
	v_fma_f64 v[12:13], v[17:18], 2.0, -v[21:22]
	s_wait_alu 0xfffe
	v_fma_f64 v[9:10], v[19:20], s[8:9], v[33:34]
	v_fma_f64 v[16:17], v[21:22], s[8:9], v[35:36]
	v_sub_nc_u32_e32 v18, v0, v45
	v_fma_f64 v[27:28], v[1:2], 2.0, -v[23:24]
	v_fma_f64 v[41:42], v[3:4], 2.0, -v[25:26]
	v_or_b32_e32 v2, s16, v46
	v_fma_f64 v[29:30], v[29:30], 2.0, -v[5:6]
	v_fma_f64 v[31:32], v[31:32], 2.0, -v[7:8]
	v_fma_f64 v[43:44], v[14:15], s[4:5], v[37:38]
	v_fma_f64 v[47:48], v[12:13], s[4:5], v[39:40]
	v_mad_co_u64_u32 v[49:50], null, s12, v2, 0
	s_delay_alu instid0(VALU_DEP_1) | instskip(NEXT) | instid1(VALU_DEP_1)
	v_mov_b32_e32 v1, v50
	v_mad_co_u64_u32 v[45:46], null, s13, v2, v[1:2]
	v_add_f64_e32 v[0:1], v[23:24], v[7:8]
	v_add_f64_e64 v[2:3], v[25:26], -v[5:6]
	v_fma_f64 v[4:5], v[21:22], s[8:9], v[9:10]
	v_fma_f64 v[6:7], v[19:20], s[4:5], v[16:17]
	v_add_nc_u32_e32 v16, v18, v74
	v_mov_b32_e32 v50, v45
	v_add_f64_e64 v[8:9], v[27:28], -v[29:30]
	v_add_f64_e64 v[10:11], v[41:42], -v[31:32]
	v_fma_f64 v[12:13], v[12:13], s[8:9], v[43:44]
	v_fma_f64 v[14:15], v[14:15], s[4:5], v[47:48]
	v_mul_lo_u32 v43, v16, s14
	v_mov_b32_e32 v44, 0
	v_lshlrev_b64_e32 v[16:17], 4, v[49:50]
	s_mul_i32 s4, s14, 24
	s_delay_alu instid0(VALU_DEP_2) | instskip(NEXT) | instid1(VALU_DEP_2)
	v_lshlrev_b64_e32 v[18:19], 4, v[43:44]
	v_add_co_u32 v51, vcc_lo, s0, v16
	s_wait_alu 0xfffe
	v_add_nc_u32_e32 v43, s4, v43
	s_wait_alu 0xfffd
	v_add_co_ci_u32_e32 v52, vcc_lo, s1, v17, vcc_lo
	v_add_co_u32 v47, vcc_lo, v51, v18
	s_delay_alu instid0(VALU_DEP_3)
	v_lshlrev_b64_e32 v[45:46], 4, v[43:44]
	v_add_nc_u32_e32 v43, s4, v43
	s_wait_alu 0xfffd
	v_add_co_ci_u32_e32 v48, vcc_lo, v52, v19, vcc_lo
	v_fma_f64 v[16:17], v[23:24], 2.0, -v[0:1]
	v_fma_f64 v[18:19], v[25:26], 2.0, -v[2:3]
	;; [unrolled: 1-line block ×4, first 2 shown]
	v_lshlrev_b64_e32 v[49:50], 4, v[43:44]
	v_add_nc_u32_e32 v43, s4, v43
	v_add_co_u32 v32, vcc_lo, v51, v45
	s_wait_alu 0xfffd
	v_add_co_ci_u32_e32 v33, vcc_lo, v52, v46, vcc_lo
	s_delay_alu instid0(VALU_DEP_3)
	v_lshlrev_b64_e32 v[34:35], 4, v[43:44]
	v_add_nc_u32_e32 v43, s4, v43
	v_add_co_u32 v36, vcc_lo, v51, v49
	v_fma_f64 v[24:25], v[27:28], 2.0, -v[8:9]
	v_fma_f64 v[26:27], v[41:42], 2.0, -v[10:11]
	;; [unrolled: 1-line block ×4, first 2 shown]
	v_lshlrev_b64_e32 v[38:39], 4, v[43:44]
	v_add_nc_u32_e32 v43, s4, v43
	s_wait_alu 0xfffd
	v_add_co_ci_u32_e32 v37, vcc_lo, v52, v50, vcc_lo
	v_add_co_u32 v34, vcc_lo, v51, v34
	s_delay_alu instid0(VALU_DEP_3) | instskip(SKIP_4) | instid1(VALU_DEP_3)
	v_lshlrev_b64_e32 v[40:41], 4, v[43:44]
	v_add_nc_u32_e32 v43, s4, v43
	s_wait_alu 0xfffd
	v_add_co_ci_u32_e32 v35, vcc_lo, v52, v35, vcc_lo
	v_add_co_u32 v38, vcc_lo, v51, v38
	v_lshlrev_b64_e32 v[45:46], 4, v[43:44]
	v_add_nc_u32_e32 v43, s4, v43
	s_wait_alu 0xfffd
	v_add_co_ci_u32_e32 v39, vcc_lo, v52, v39, vcc_lo
	v_add_co_u32 v40, vcc_lo, v51, v40
	s_delay_alu instid0(VALU_DEP_3)
	v_lshlrev_b64_e32 v[42:43], 4, v[43:44]
	s_wait_alu 0xfffd
	v_add_co_ci_u32_e32 v41, vcc_lo, v52, v41, vcc_lo
	v_add_co_u32 v44, vcc_lo, v51, v45
	s_wait_alu 0xfffd
	v_add_co_ci_u32_e32 v45, vcc_lo, v52, v46, vcc_lo
	v_add_co_u32 v42, vcc_lo, v51, v42
	s_wait_alu 0xfffd
	v_add_co_ci_u32_e32 v43, vcc_lo, v52, v43, vcc_lo
	s_clause 0x7
	global_store_b128 v[47:48], v[24:27], off
	global_store_b128 v[32:33], v[28:31], off
	;; [unrolled: 1-line block ×8, first 2 shown]
	s_nop 0
	s_sendmsg sendmsg(MSG_DEALLOC_VGPRS)
	s_endpgm
	.section	.rodata,"a",@progbits
	.p2align	6, 0x0
	.amdhsa_kernel fft_rtc_back_len192_factors_8_3_8_wgs_192_tpt_24_dim2_dp_op_CI_CI_sbrc_aligned_dirReg
		.amdhsa_group_segment_fixed_size 0
		.amdhsa_private_segment_fixed_size 0
		.amdhsa_kernarg_size 96
		.amdhsa_user_sgpr_count 2
		.amdhsa_user_sgpr_dispatch_ptr 0
		.amdhsa_user_sgpr_queue_ptr 0
		.amdhsa_user_sgpr_kernarg_segment_ptr 1
		.amdhsa_user_sgpr_dispatch_id 0
		.amdhsa_user_sgpr_private_segment_size 0
		.amdhsa_wavefront_size32 1
		.amdhsa_uses_dynamic_stack 0
		.amdhsa_enable_private_segment 0
		.amdhsa_system_sgpr_workgroup_id_x 1
		.amdhsa_system_sgpr_workgroup_id_y 0
		.amdhsa_system_sgpr_workgroup_id_z 0
		.amdhsa_system_sgpr_workgroup_info 0
		.amdhsa_system_vgpr_workitem_id 0
		.amdhsa_next_free_vgpr 77
		.amdhsa_next_free_sgpr 20
		.amdhsa_reserve_vcc 1
		.amdhsa_float_round_mode_32 0
		.amdhsa_float_round_mode_16_64 0
		.amdhsa_float_denorm_mode_32 3
		.amdhsa_float_denorm_mode_16_64 3
		.amdhsa_fp16_overflow 0
		.amdhsa_workgroup_processor_mode 1
		.amdhsa_memory_ordered 1
		.amdhsa_forward_progress 0
		.amdhsa_round_robin_scheduling 0
		.amdhsa_exception_fp_ieee_invalid_op 0
		.amdhsa_exception_fp_denorm_src 0
		.amdhsa_exception_fp_ieee_div_zero 0
		.amdhsa_exception_fp_ieee_overflow 0
		.amdhsa_exception_fp_ieee_underflow 0
		.amdhsa_exception_fp_ieee_inexact 0
		.amdhsa_exception_int_div_zero 0
	.end_amdhsa_kernel
	.text
.Lfunc_end0:
	.size	fft_rtc_back_len192_factors_8_3_8_wgs_192_tpt_24_dim2_dp_op_CI_CI_sbrc_aligned_dirReg, .Lfunc_end0-fft_rtc_back_len192_factors_8_3_8_wgs_192_tpt_24_dim2_dp_op_CI_CI_sbrc_aligned_dirReg
                                        ; -- End function
	.section	.AMDGPU.csdata,"",@progbits
; Kernel info:
; codeLenInByte = 3676
; NumSgprs: 22
; NumVgprs: 77
; ScratchSize: 0
; MemoryBound: 0
; FloatMode: 240
; IeeeMode: 1
; LDSByteSize: 0 bytes/workgroup (compile time only)
; SGPRBlocks: 2
; VGPRBlocks: 9
; NumSGPRsForWavesPerEU: 22
; NumVGPRsForWavesPerEU: 77
; Occupancy: 15
; WaveLimiterHint : 1
; COMPUTE_PGM_RSRC2:SCRATCH_EN: 0
; COMPUTE_PGM_RSRC2:USER_SGPR: 2
; COMPUTE_PGM_RSRC2:TRAP_HANDLER: 0
; COMPUTE_PGM_RSRC2:TGID_X_EN: 1
; COMPUTE_PGM_RSRC2:TGID_Y_EN: 0
; COMPUTE_PGM_RSRC2:TGID_Z_EN: 0
; COMPUTE_PGM_RSRC2:TIDIG_COMP_CNT: 0
	.text
	.p2alignl 7, 3214868480
	.fill 96, 4, 3214868480
	.type	__hip_cuid_fcbd4432b7131143,@object ; @__hip_cuid_fcbd4432b7131143
	.section	.bss,"aw",@nobits
	.globl	__hip_cuid_fcbd4432b7131143
__hip_cuid_fcbd4432b7131143:
	.byte	0                               ; 0x0
	.size	__hip_cuid_fcbd4432b7131143, 1

	.ident	"AMD clang version 19.0.0git (https://github.com/RadeonOpenCompute/llvm-project roc-6.4.0 25133 c7fe45cf4b819c5991fe208aaa96edf142730f1d)"
	.section	".note.GNU-stack","",@progbits
	.addrsig
	.addrsig_sym __hip_cuid_fcbd4432b7131143
	.amdgpu_metadata
---
amdhsa.kernels:
  - .args:
      - .actual_access:  read_only
        .address_space:  global
        .offset:         0
        .size:           8
        .value_kind:     global_buffer
      - .actual_access:  read_only
        .address_space:  global
        .offset:         8
        .size:           8
        .value_kind:     global_buffer
      - .actual_access:  read_only
        .address_space:  global
        .offset:         16
        .size:           8
        .value_kind:     global_buffer
      - .actual_access:  read_only
        .address_space:  global
        .offset:         24
        .size:           8
        .value_kind:     global_buffer
      - .offset:         32
        .size:           8
        .value_kind:     by_value
      - .actual_access:  read_only
        .address_space:  global
        .offset:         40
        .size:           8
        .value_kind:     global_buffer
      - .actual_access:  read_only
        .address_space:  global
        .offset:         48
        .size:           8
        .value_kind:     global_buffer
      - .offset:         56
        .size:           4
        .value_kind:     by_value
      - .actual_access:  read_only
        .address_space:  global
        .offset:         64
        .size:           8
        .value_kind:     global_buffer
      - .actual_access:  read_only
        .address_space:  global
        .offset:         72
        .size:           8
        .value_kind:     global_buffer
      - .actual_access:  read_only
        .address_space:  global
        .offset:         80
        .size:           8
        .value_kind:     global_buffer
      - .actual_access:  write_only
        .address_space:  global
        .offset:         88
        .size:           8
        .value_kind:     global_buffer
    .group_segment_fixed_size: 0
    .kernarg_segment_align: 8
    .kernarg_segment_size: 96
    .language:       OpenCL C
    .language_version:
      - 2
      - 0
    .max_flat_workgroup_size: 192
    .name:           fft_rtc_back_len192_factors_8_3_8_wgs_192_tpt_24_dim2_dp_op_CI_CI_sbrc_aligned_dirReg
    .private_segment_fixed_size: 0
    .sgpr_count:     22
    .sgpr_spill_count: 0
    .symbol:         fft_rtc_back_len192_factors_8_3_8_wgs_192_tpt_24_dim2_dp_op_CI_CI_sbrc_aligned_dirReg.kd
    .uniform_work_group_size: 1
    .uses_dynamic_stack: false
    .vgpr_count:     77
    .vgpr_spill_count: 0
    .wavefront_size: 32
    .workgroup_processor_mode: 1
amdhsa.target:   amdgcn-amd-amdhsa--gfx1201
amdhsa.version:
  - 1
  - 2
...

	.end_amdgpu_metadata
